;; amdgpu-corpus repo=ROCm/rocFFT kind=compiled arch=gfx950 opt=O3
	.text
	.amdgcn_target "amdgcn-amd-amdhsa--gfx950"
	.amdhsa_code_object_version 6
	.protected	fft_rtc_back_len1500_factors_5_10_10_3_wgs_150_tpt_150_halfLds_dp_ip_CI_unitstride_sbrr_dirReg ; -- Begin function fft_rtc_back_len1500_factors_5_10_10_3_wgs_150_tpt_150_halfLds_dp_ip_CI_unitstride_sbrr_dirReg
	.globl	fft_rtc_back_len1500_factors_5_10_10_3_wgs_150_tpt_150_halfLds_dp_ip_CI_unitstride_sbrr_dirReg
	.p2align	8
	.type	fft_rtc_back_len1500_factors_5_10_10_3_wgs_150_tpt_150_halfLds_dp_ip_CI_unitstride_sbrr_dirReg,@function
fft_rtc_back_len1500_factors_5_10_10_3_wgs_150_tpt_150_halfLds_dp_ip_CI_unitstride_sbrr_dirReg: ; @fft_rtc_back_len1500_factors_5_10_10_3_wgs_150_tpt_150_halfLds_dp_ip_CI_unitstride_sbrr_dirReg
; %bb.0:
	s_load_dwordx2 s[8:9], s[0:1], 0x50
	s_load_dwordx4 s[4:7], s[0:1], 0x0
	s_load_dwordx2 s[10:11], s[0:1], 0x18
	v_mul_u32_u24_e32 v1, 0x1b5, v0
	v_add_u32_sdwa v6, s2, v1 dst_sel:DWORD dst_unused:UNUSED_PAD src0_sel:DWORD src1_sel:WORD_1
	v_mov_b32_e32 v4, 0
	s_waitcnt lgkmcnt(0)
	v_cmp_lt_u64_e64 s[2:3], s[6:7], 2
	v_mov_b32_e32 v7, v4
	s_and_b64 vcc, exec, s[2:3]
	v_mov_b64_e32 v[2:3], 0
	s_cbranch_vccnz .LBB0_8
; %bb.1:
	s_load_dwordx2 s[2:3], s[0:1], 0x10
	s_add_u32 s12, s10, 8
	s_addc_u32 s13, s11, 0
	s_mov_b64 s[14:15], 1
	v_mov_b64_e32 v[2:3], 0
	s_waitcnt lgkmcnt(0)
	s_add_u32 s16, s2, 8
	s_addc_u32 s17, s3, 0
.LBB0_2:                                ; =>This Inner Loop Header: Depth=1
	s_load_dwordx2 s[18:19], s[16:17], 0x0
                                        ; implicit-def: $vgpr8_vgpr9
	s_waitcnt lgkmcnt(0)
	v_or_b32_e32 v5, s19, v7
	v_cmp_ne_u64_e32 vcc, 0, v[4:5]
	s_and_saveexec_b64 s[2:3], vcc
	s_xor_b64 s[20:21], exec, s[2:3]
	s_cbranch_execz .LBB0_4
; %bb.3:                                ;   in Loop: Header=BB0_2 Depth=1
	v_cvt_f32_u32_e32 v1, s18
	v_cvt_f32_u32_e32 v5, s19
	s_sub_u32 s2, 0, s18
	s_subb_u32 s3, 0, s19
	v_fmac_f32_e32 v1, 0x4f800000, v5
	v_rcp_f32_e32 v1, v1
	s_nop 0
	v_mul_f32_e32 v1, 0x5f7ffffc, v1
	v_mul_f32_e32 v5, 0x2f800000, v1
	v_trunc_f32_e32 v5, v5
	v_fmac_f32_e32 v1, 0xcf800000, v5
	v_cvt_u32_f32_e32 v5, v5
	v_cvt_u32_f32_e32 v1, v1
	v_mul_lo_u32 v8, s2, v5
	v_mul_hi_u32 v10, s2, v1
	v_mul_lo_u32 v9, s3, v1
	v_add_u32_e32 v10, v10, v8
	v_mul_lo_u32 v12, s2, v1
	v_add_u32_e32 v13, v10, v9
	v_mul_hi_u32 v8, v1, v12
	v_mul_hi_u32 v11, v1, v13
	v_mul_lo_u32 v10, v1, v13
	v_mov_b32_e32 v9, v4
	v_lshl_add_u64 v[8:9], v[8:9], 0, v[10:11]
	v_mul_hi_u32 v11, v5, v12
	v_mul_lo_u32 v12, v5, v12
	v_add_co_u32_e32 v8, vcc, v8, v12
	v_mul_hi_u32 v10, v5, v13
	s_nop 0
	v_addc_co_u32_e32 v8, vcc, v9, v11, vcc
	v_mov_b32_e32 v9, v4
	s_nop 0
	v_addc_co_u32_e32 v11, vcc, 0, v10, vcc
	v_mul_lo_u32 v10, v5, v13
	v_lshl_add_u64 v[8:9], v[8:9], 0, v[10:11]
	v_add_co_u32_e32 v1, vcc, v1, v8
	v_mul_lo_u32 v10, s2, v1
	s_nop 0
	v_addc_co_u32_e32 v5, vcc, v5, v9, vcc
	v_mul_lo_u32 v8, s2, v5
	v_mul_hi_u32 v9, s2, v1
	v_add_u32_e32 v8, v9, v8
	v_mul_lo_u32 v9, s3, v1
	v_add_u32_e32 v12, v8, v9
	v_mul_hi_u32 v14, v5, v10
	v_mul_lo_u32 v15, v5, v10
	v_mul_hi_u32 v9, v1, v12
	v_mul_lo_u32 v8, v1, v12
	v_mul_hi_u32 v10, v1, v10
	v_mov_b32_e32 v11, v4
	v_lshl_add_u64 v[8:9], v[10:11], 0, v[8:9]
	v_add_co_u32_e32 v8, vcc, v8, v15
	v_mul_hi_u32 v13, v5, v12
	s_nop 0
	v_addc_co_u32_e32 v8, vcc, v9, v14, vcc
	v_mul_lo_u32 v10, v5, v12
	s_nop 0
	v_addc_co_u32_e32 v11, vcc, 0, v13, vcc
	v_mov_b32_e32 v9, v4
	v_lshl_add_u64 v[8:9], v[8:9], 0, v[10:11]
	v_add_co_u32_e32 v1, vcc, v1, v8
	v_mul_hi_u32 v10, v6, v1
	s_nop 0
	v_addc_co_u32_e32 v5, vcc, v5, v9, vcc
	v_mad_u64_u32 v[8:9], s[2:3], v6, v5, 0
	v_mov_b32_e32 v11, v4
	v_lshl_add_u64 v[8:9], v[10:11], 0, v[8:9]
	v_mad_u64_u32 v[12:13], s[2:3], v7, v1, 0
	v_add_co_u32_e32 v1, vcc, v8, v12
	v_mad_u64_u32 v[10:11], s[2:3], v7, v5, 0
	s_nop 0
	v_addc_co_u32_e32 v8, vcc, v9, v13, vcc
	v_mov_b32_e32 v9, v4
	s_nop 0
	v_addc_co_u32_e32 v11, vcc, 0, v11, vcc
	v_lshl_add_u64 v[8:9], v[8:9], 0, v[10:11]
	v_mul_lo_u32 v1, s19, v8
	v_mul_lo_u32 v5, s18, v9
	v_mad_u64_u32 v[10:11], s[2:3], s18, v8, 0
	v_add3_u32 v1, v11, v5, v1
	v_sub_u32_e32 v5, v7, v1
	v_mov_b32_e32 v11, s19
	v_sub_co_u32_e32 v14, vcc, v6, v10
	v_lshl_add_u64 v[12:13], v[8:9], 0, 1
	s_nop 0
	v_subb_co_u32_e64 v5, s[2:3], v5, v11, vcc
	v_subrev_co_u32_e64 v10, s[2:3], s18, v14
	v_subb_co_u32_e32 v1, vcc, v7, v1, vcc
	s_nop 0
	v_subbrev_co_u32_e64 v5, s[2:3], 0, v5, s[2:3]
	v_cmp_le_u32_e64 s[2:3], s19, v5
	v_cmp_le_u32_e32 vcc, s19, v1
	s_nop 0
	v_cndmask_b32_e64 v11, 0, -1, s[2:3]
	v_cmp_le_u32_e64 s[2:3], s18, v10
	s_nop 1
	v_cndmask_b32_e64 v10, 0, -1, s[2:3]
	v_cmp_eq_u32_e64 s[2:3], s19, v5
	s_nop 1
	v_cndmask_b32_e64 v5, v11, v10, s[2:3]
	v_lshl_add_u64 v[10:11], v[8:9], 0, 2
	v_cmp_ne_u32_e64 s[2:3], 0, v5
	s_nop 1
	v_cndmask_b32_e64 v5, v13, v11, s[2:3]
	v_cndmask_b32_e64 v11, 0, -1, vcc
	v_cmp_le_u32_e32 vcc, s18, v14
	s_nop 1
	v_cndmask_b32_e64 v13, 0, -1, vcc
	v_cmp_eq_u32_e32 vcc, s19, v1
	s_nop 1
	v_cndmask_b32_e32 v1, v11, v13, vcc
	v_cmp_ne_u32_e32 vcc, 0, v1
	v_cndmask_b32_e64 v1, v12, v10, s[2:3]
	s_nop 0
	v_cndmask_b32_e32 v9, v9, v5, vcc
	v_cndmask_b32_e32 v8, v8, v1, vcc
.LBB0_4:                                ;   in Loop: Header=BB0_2 Depth=1
	s_andn2_saveexec_b64 s[2:3], s[20:21]
	s_cbranch_execz .LBB0_6
; %bb.5:                                ;   in Loop: Header=BB0_2 Depth=1
	v_cvt_f32_u32_e32 v1, s18
	s_sub_i32 s20, 0, s18
	v_rcp_iflag_f32_e32 v1, v1
	s_nop 0
	v_mul_f32_e32 v1, 0x4f7ffffe, v1
	v_cvt_u32_f32_e32 v1, v1
	v_mul_lo_u32 v5, s20, v1
	v_mul_hi_u32 v5, v1, v5
	v_add_u32_e32 v1, v1, v5
	v_mul_hi_u32 v1, v6, v1
	v_mul_lo_u32 v5, v1, s18
	v_sub_u32_e32 v5, v6, v5
	v_add_u32_e32 v8, 1, v1
	v_subrev_u32_e32 v9, s18, v5
	v_cmp_le_u32_e32 vcc, s18, v5
	s_nop 1
	v_cndmask_b32_e32 v5, v5, v9, vcc
	v_cndmask_b32_e32 v1, v1, v8, vcc
	v_add_u32_e32 v8, 1, v1
	v_cmp_le_u32_e32 vcc, s18, v5
	v_mov_b32_e32 v9, v4
	s_nop 0
	v_cndmask_b32_e32 v8, v1, v8, vcc
.LBB0_6:                                ;   in Loop: Header=BB0_2 Depth=1
	s_or_b64 exec, exec, s[2:3]
	v_mad_u64_u32 v[10:11], s[2:3], v8, s18, 0
	s_load_dwordx2 s[2:3], s[12:13], 0x0
	v_mul_lo_u32 v1, v9, s18
	v_mul_lo_u32 v5, v8, s19
	v_add3_u32 v1, v11, v5, v1
	v_sub_co_u32_e32 v5, vcc, v6, v10
	s_add_u32 s14, s14, 1
	s_nop 0
	v_subb_co_u32_e32 v1, vcc, v7, v1, vcc
	s_addc_u32 s15, s15, 0
	s_waitcnt lgkmcnt(0)
	v_mul_lo_u32 v1, s2, v1
	v_mul_lo_u32 v6, s3, v5
	v_mad_u64_u32 v[2:3], s[2:3], s2, v5, v[2:3]
	s_add_u32 s12, s12, 8
	v_add3_u32 v3, v6, v3, v1
	s_addc_u32 s13, s13, 0
	v_mov_b64_e32 v[6:7], s[6:7]
	s_add_u32 s16, s16, 8
	v_cmp_ge_u64_e32 vcc, s[14:15], v[6:7]
	s_addc_u32 s17, s17, 0
	s_cbranch_vccnz .LBB0_9
; %bb.7:                                ;   in Loop: Header=BB0_2 Depth=1
	v_mov_b64_e32 v[6:7], v[8:9]
	s_branch .LBB0_2
.LBB0_8:
	v_mov_b64_e32 v[8:9], v[6:7]
.LBB0_9:
	s_lshl_b64 s[2:3], s[6:7], 3
	s_add_u32 s2, s10, s2
	s_addc_u32 s3, s11, s3
	s_load_dwordx2 s[6:7], s[2:3], 0x0
	s_load_dwordx2 s[10:11], s[0:1], 0x20
	s_mov_b32 s2, 0x1b4e81c
                                        ; implicit-def: $vgpr24_vgpr25
                                        ; implicit-def: $vgpr20_vgpr21
                                        ; implicit-def: $vgpr16_vgpr17
                                        ; implicit-def: $vgpr12_vgpr13
                                        ; implicit-def: $vgpr40_vgpr41
                                        ; implicit-def: $vgpr36_vgpr37
                                        ; implicit-def: $vgpr32_vgpr33
                                        ; implicit-def: $vgpr28_vgpr29
	s_waitcnt lgkmcnt(0)
	v_mul_lo_u32 v1, s6, v9
	v_mul_lo_u32 v4, s7, v8
	v_mad_u64_u32 v[2:3], s[0:1], s6, v8, v[2:3]
	v_add3_u32 v3, v4, v3, v1
	v_mul_hi_u32 v1, v0, s2
	v_mul_u32_u24_e32 v1, 0x96, v1
	v_cmp_gt_u64_e64 s[0:1], s[10:11], v[8:9]
	v_sub_u32_e32 v42, v0, v1
	v_lshl_add_u64 v[44:45], v[2:3], 4, s[8:9]
                                        ; implicit-def: $vgpr4_vgpr5
                                        ; implicit-def: $vgpr0_vgpr1
                                        ; implicit-def: $vgpr8_vgpr9
                                        ; implicit-def: $vgpr2_vgpr3
	s_and_saveexec_b64 s[2:3], s[0:1]
	s_cbranch_execz .LBB0_11
; %bb.10:
	v_mov_b32_e32 v43, 0
	v_lshl_add_u64 v[0:1], v[42:43], 4, v[44:45]
	v_add_co_u32_e32 v22, vcc, 0x1000, v0
	s_nop 1
	v_addc_co_u32_e32 v23, vcc, 0, v1, vcc
	v_add_co_u32_e32 v24, vcc, 0x2000, v0
	s_nop 1
	v_addc_co_u32_e32 v25, vcc, 0, v1, vcc
	;; [unrolled: 3-line block ×4, first 2 shown]
	global_load_dwordx4 v[6:9], v[0:1], off
	global_load_dwordx4 v[2:5], v[0:1], off offset:2400
	global_load_dwordx4 v[26:29], v[22:23], off offset:704
	;; [unrolled: 1-line block ×7, first 2 shown]
	v_add_co_u32_e32 v0, vcc, 0x5000, v0
	s_nop 1
	v_addc_co_u32_e32 v1, vcc, 0, v1, vcc
	global_load_dwordx4 v[38:41], v[46:47], off offset:2816
	global_load_dwordx4 v[22:25], v[0:1], off offset:1120
	s_waitcnt vmcnt(8)
	v_mov_b64_e32 v[0:1], v[2:3]
	v_mov_b64_e32 v[2:3], v[6:7]
.LBB0_11:
	s_or_b64 exec, exec, s[2:3]
	s_waitcnt vmcnt(3)
	v_add_f64 v[46:47], v[34:35], v[30:31]
	s_mov_b32 s12, 0x134454ff
	v_fma_f64 v[46:47], -0.5, v[46:47], v[2:3]
	s_waitcnt vmcnt(1)
	v_add_f64 v[48:49], v[28:29], -v[40:41]
	s_mov_b32 s13, 0xbfee6f0e
	s_mov_b32 s8, 0x4755a5e
	;; [unrolled: 1-line block ×4, first 2 shown]
	v_fma_f64 v[50:51], s[12:13], v[48:49], v[46:47]
	v_add_f64 v[52:53], v[32:33], -v[36:37]
	s_mov_b32 s9, 0xbfe2cf23
	v_add_f64 v[54:55], v[26:27], -v[30:31]
	v_add_f64 v[56:57], v[38:39], -v[34:35]
	s_mov_b32 s6, 0x372fe950
	v_fmac_f64_e32 v[46:47], s[10:11], v[48:49]
	s_mov_b32 s15, 0x3fe2cf23
	s_mov_b32 s14, s8
	v_fmac_f64_e32 v[50:51], s[8:9], v[52:53]
	v_add_f64 v[54:55], v[56:57], v[54:55]
	s_mov_b32 s7, 0x3fd3c6ef
	v_fmac_f64_e32 v[46:47], s[14:15], v[52:53]
	v_fmac_f64_e32 v[50:51], s[6:7], v[54:55]
	;; [unrolled: 1-line block ×3, first 2 shown]
	v_add_f64 v[54:55], v[38:39], v[26:27]
	v_add_f64 v[6:7], v[26:27], v[2:3]
	v_fmac_f64_e32 v[2:3], -0.5, v[54:55]
	v_add_f64 v[54:55], v[30:31], -v[26:27]
	v_add_f64 v[56:57], v[34:35], -v[38:39]
	v_add_f64 v[54:55], v[56:57], v[54:55]
	v_fma_f64 v[56:57], s[10:11], v[52:53], v[2:3]
	v_fmac_f64_e32 v[2:3], s[12:13], v[52:53]
	v_add_f64 v[58:59], v[30:31], -v[34:35]
	v_add_f64 v[6:7], v[30:31], v[6:7]
	v_add_f64 v[30:31], v[28:29], v[8:9]
	v_fmac_f64_e32 v[56:57], s[8:9], v[48:49]
	v_fmac_f64_e32 v[2:3], s[14:15], v[48:49]
	v_add_f64 v[48:49], v[36:37], v[32:33]
	v_add_f64 v[52:53], v[28:29], -v[32:33]
	v_add_f64 v[30:31], v[32:33], v[30:31]
	v_add_f64 v[32:33], v[32:33], -v[28:29]
	v_add_f64 v[28:29], v[40:41], v[28:29]
	v_fma_f64 v[48:49], -0.5, v[48:49], v[8:9]
	v_fmac_f64_e32 v[8:9], -0.5, v[28:29]
	v_fmac_f64_e32 v[56:57], s[6:7], v[54:55]
	v_fmac_f64_e32 v[2:3], s[6:7], v[54:55]
	v_add_f64 v[54:55], v[40:41], -v[36:37]
	v_add_f64 v[26:27], v[26:27], -v[38:39]
	v_fma_f64 v[60:61], s[12:13], v[58:59], v[8:9]
	v_add_f64 v[28:29], v[36:37], -v[40:41]
	v_fmac_f64_e32 v[8:9], s[10:11], v[58:59]
	v_add_f64 v[52:53], v[54:55], v[52:53]
	v_fma_f64 v[54:55], s[10:11], v[26:27], v[48:49]
	v_fmac_f64_e32 v[48:49], s[12:13], v[26:27]
	v_fmac_f64_e32 v[60:61], s[14:15], v[26:27]
	v_add_f64 v[28:29], v[28:29], v[32:33]
	v_fmac_f64_e32 v[8:9], s[8:9], v[26:27]
	v_fmac_f64_e32 v[54:55], s[14:15], v[58:59]
	;; [unrolled: 1-line block ×3, first 2 shown]
	v_add_f64 v[30:31], v[36:37], v[30:31]
	v_fmac_f64_e32 v[60:61], s[6:7], v[28:29]
	v_fmac_f64_e32 v[8:9], s[6:7], v[28:29]
	v_add_f64 v[28:29], v[18:19], v[14:15]
	v_fmac_f64_e32 v[54:55], s[6:7], v[52:53]
	v_fmac_f64_e32 v[48:49], s[6:7], v[52:53]
	v_add_f64 v[6:7], v[34:35], v[6:7]
	v_add_f64 v[52:53], v[40:41], v[30:31]
	v_fma_f64 v[28:29], -0.5, v[28:29], v[0:1]
	s_waitcnt vmcnt(0)
	v_add_f64 v[30:31], v[12:13], -v[24:25]
	v_add_f64 v[6:7], v[38:39], v[6:7]
	v_fma_f64 v[32:33], s[12:13], v[30:31], v[28:29]
	v_add_f64 v[34:35], v[16:17], -v[20:21]
	v_add_f64 v[36:37], v[10:11], -v[14:15]
	;; [unrolled: 1-line block ×3, first 2 shown]
	v_fmac_f64_e32 v[28:29], s[10:11], v[30:31]
	v_fmac_f64_e32 v[32:33], s[8:9], v[34:35]
	v_add_f64 v[36:37], v[38:39], v[36:37]
	v_fmac_f64_e32 v[28:29], s[14:15], v[34:35]
	v_fmac_f64_e32 v[32:33], s[6:7], v[36:37]
	v_fmac_f64_e32 v[28:29], s[6:7], v[36:37]
	v_add_f64 v[36:37], v[22:23], v[10:11]
	v_add_f64 v[26:27], v[10:11], v[0:1]
	v_fmac_f64_e32 v[0:1], -0.5, v[36:37]
	v_fma_f64 v[40:41], s[10:11], v[34:35], v[0:1]
	v_fmac_f64_e32 v[0:1], s[12:13], v[34:35]
	v_fmac_f64_e32 v[40:41], s[8:9], v[30:31]
	v_fmac_f64_e32 v[0:1], s[14:15], v[30:31]
	v_add_f64 v[30:31], v[20:21], v[16:17]
	v_fma_f64 v[58:59], -0.5, v[30:31], v[4:5]
	v_add_f64 v[30:31], v[12:13], -v[16:17]
	v_add_f64 v[34:35], v[24:25], -v[20:21]
	v_add_f64 v[36:37], v[14:15], -v[10:11]
	v_add_f64 v[30:31], v[34:35], v[30:31]
	v_add_f64 v[34:35], v[14:15], -v[18:19]
	v_add_f64 v[14:15], v[14:15], v[26:27]
	v_add_f64 v[26:27], v[12:13], v[4:5]
	;; [unrolled: 1-line block ×3, first 2 shown]
	v_add_f64 v[16:17], v[16:17], -v[12:13]
	v_add_f64 v[12:13], v[24:25], v[12:13]
	v_fmac_f64_e32 v[4:5], -0.5, v[12:13]
	v_add_f64 v[38:39], v[18:19], -v[22:23]
	v_add_f64 v[10:11], v[10:11], -v[22:23]
	v_fma_f64 v[64:65], s[12:13], v[34:35], v[4:5]
	v_add_f64 v[12:13], v[20:21], -v[24:25]
	v_fmac_f64_e32 v[4:5], s[10:11], v[34:35]
	v_add_f64 v[36:37], v[38:39], v[36:37]
	v_add_f64 v[14:15], v[18:19], v[14:15]
	v_fmac_f64_e32 v[64:65], s[14:15], v[10:11]
	v_add_f64 v[12:13], v[12:13], v[16:17]
	v_fmac_f64_e32 v[4:5], s[8:9], v[10:11]
	v_mad_u32_u24 v38, v42, 40, 0
	v_lshlrev_b32_e32 v39, 5, v42
	v_fma_f64 v[62:63], s[10:11], v[10:11], v[58:59]
	v_fmac_f64_e32 v[58:59], s[12:13], v[10:11]
	v_add_f64 v[14:15], v[22:23], v[14:15]
	v_fmac_f64_e32 v[64:65], s[6:7], v[12:13]
	v_fmac_f64_e32 v[4:5], s[6:7], v[12:13]
	ds_write2_b64 v38, v[6:7], v[50:51] offset1:1
	ds_write2_b64 v38, v[56:57], v[2:3] offset0:2 offset1:3
	ds_write_b64 v38, v[46:47] offset:32
	v_add_u32_e32 v6, 0x1770, v38
	v_sub_u32_e32 v12, v38, v39
	v_fmac_f64_e32 v[40:41], s[6:7], v[36:37]
	v_fmac_f64_e32 v[0:1], s[6:7], v[36:37]
	;; [unrolled: 1-line block ×4, first 2 shown]
	v_add_f64 v[18:19], v[20:21], v[26:27]
	ds_write2_b64 v6, v[14:15], v[32:33] offset1:1
	v_add_u32_e32 v7, 0x1780, v38
	v_add_u32_e32 v13, 0x800, v12
	;; [unrolled: 1-line block ×5, first 2 shown]
	s_movk_i32 s2, 0xcd
	v_fmac_f64_e32 v[62:63], s[6:7], v[30:31]
	v_fmac_f64_e32 v[58:59], s[6:7], v[30:31]
	v_add_f64 v[18:19], v[24:25], v[18:19]
	ds_write2_b64 v7, v[40:41], v[0:1] offset1:1
	ds_write_b64 v38, v[28:29] offset:6032
	s_waitcnt lgkmcnt(0)
	s_barrier
	ds_read2_b64 v[0:3], v12 offset1:150
	ds_read2_b64 v[22:25], v13 offset0:44 offset1:194
	ds_read2_b64 v[26:29], v15 offset0:88 offset1:238
	;; [unrolled: 1-line block ×4, first 2 shown]
	s_waitcnt lgkmcnt(0)
	s_barrier
	ds_write2_b64 v38, v[52:53], v[54:55] offset1:1
	ds_write2_b64 v38, v[60:61], v[8:9] offset0:2 offset1:3
	ds_write_b64 v38, v[48:49] offset:32
	ds_write2_b64 v6, v[18:19], v[62:63] offset1:1
	ds_write2_b64 v7, v[64:65], v[4:5] offset1:1
	ds_write_b64 v38, v[58:59] offset:6032
	v_mul_lo_u16_sdwa v4, v42, s2 dst_sel:DWORD dst_unused:UNUSED_PAD src0_sel:BYTE_0 src1_sel:DWORD
	v_lshrrev_b16_e32 v17, 10, v4
	v_mul_lo_u16_e32 v4, 5, v17
	v_sub_u16_e32 v21, v42, v4
	v_mov_b32_e32 v16, 9
	v_mul_u32_u24_sdwa v4, v21, v16 dst_sel:DWORD dst_unused:UNUSED_PAD src0_sel:BYTE_0 src1_sel:DWORD
	v_lshlrev_b32_e32 v18, 4, v4
	s_waitcnt lgkmcnt(0)
	s_barrier
	global_load_dwordx4 v[4:7], v18, s[4:5] offset:16
	global_load_dwordx4 v[8:11], v18, s[4:5] offset:32
	;; [unrolled: 1-line block ×8, first 2 shown]
	global_load_dwordx4 v[70:73], v18, s[4:5]
	ds_read2_b64 v[74:77], v13 offset0:44 offset1:194
	s_mov_b32 s19, 0xbfd3c6ef
	s_mov_b32 s18, s6
	;; [unrolled: 1-line block ×6, first 2 shown]
	v_mov_b32_e32 v43, 3
	v_sub_u32_e32 v39, 0, v39
	s_waitcnt vmcnt(8) lgkmcnt(0)
	v_mul_f64 v[18:19], v[74:75], v[6:7]
	v_mul_f64 v[6:7], v[22:23], v[6:7]
	v_fmac_f64_e32 v[18:19], v[22:23], v[4:5]
	v_fma_f64 v[22:23], v[74:75], v[4:5], -v[6:7]
	ds_read2_b64 v[4:7], v15 offset0:88 offset1:238
	s_waitcnt vmcnt(7)
	v_mul_f64 v[40:41], v[76:77], v[10:11]
	v_mul_f64 v[10:11], v[24:25], v[10:11]
	v_fmac_f64_e32 v[40:41], v[24:25], v[8:9]
	v_fma_f64 v[24:25], v[76:77], v[8:9], -v[10:11]
	s_waitcnt vmcnt(6) lgkmcnt(0)
	v_mul_f64 v[74:75], v[4:5], v[48:49]
	v_mul_f64 v[8:9], v[26:27], v[48:49]
	v_fmac_f64_e32 v[74:75], v[26:27], v[46:47]
	v_fma_f64 v[26:27], v[4:5], v[46:47], -v[8:9]
	ds_read2_b64 v[8:11], v20 offset0:4 offset1:154
	s_waitcnt vmcnt(5)
	v_mul_f64 v[46:47], v[6:7], v[52:53]
	v_mul_f64 v[4:5], v[28:29], v[52:53]
	v_fmac_f64_e32 v[46:47], v[28:29], v[50:51]
	v_fma_f64 v[28:29], v[6:7], v[50:51], -v[4:5]
	s_waitcnt vmcnt(4) lgkmcnt(0)
	v_mul_f64 v[48:49], v[8:9], v[56:57]
	v_mul_f64 v[4:5], v[30:31], v[56:57]
	v_fmac_f64_e32 v[48:49], v[30:31], v[54:55]
	v_fma_f64 v[30:31], v[8:9], v[54:55], -v[4:5]
	ds_read2_b64 v[6:9], v14 offset0:48 offset1:198
	s_waitcnt vmcnt(3)
	v_mul_f64 v[50:51], v[10:11], v[60:61]
	v_mul_f64 v[4:5], v[32:33], v[60:61]
	v_fmac_f64_e32 v[50:51], v[32:33], v[58:59]
	v_fma_f64 v[32:33], v[10:11], v[58:59], -v[4:5]
	s_waitcnt vmcnt(2) lgkmcnt(0)
	v_mul_f64 v[52:53], v[6:7], v[64:65]
	v_mul_f64 v[4:5], v[34:35], v[64:65]
	v_fmac_f64_e32 v[52:53], v[34:35], v[62:63]
	v_fma_f64 v[34:35], v[6:7], v[62:63], -v[4:5]
	ds_read2_b64 v[4:7], v12 offset1:150
	s_waitcnt vmcnt(1)
	v_mul_f64 v[54:55], v[8:9], v[68:69]
	v_mul_f64 v[10:11], v[36:37], v[68:69]
	v_fmac_f64_e32 v[54:55], v[36:37], v[66:67]
	v_fma_f64 v[36:37], v[8:9], v[66:67], -v[10:11]
	s_waitcnt vmcnt(0) lgkmcnt(0)
	v_mul_f64 v[8:9], v[6:7], v[72:73]
	v_fmac_f64_e32 v[8:9], v[2:3], v[70:71]
	v_mul_f64 v[2:3], v[2:3], v[72:73]
	v_fma_f64 v[2:3], v[6:7], v[70:71], -v[2:3]
	v_add_f64 v[6:7], v[18:19], -v[74:75]
	v_add_f64 v[10:11], v[52:53], -v[48:49]
	v_add_f64 v[56:57], v[6:7], v[10:11]
	v_add_f64 v[6:7], v[74:75], v[48:49]
	v_fma_f64 v[6:7], -0.5, v[6:7], v[0:1]
	v_add_f64 v[58:59], v[22:23], -v[34:35]
	v_fma_f64 v[10:11], s[12:13], v[58:59], v[6:7]
	v_add_f64 v[60:61], v[26:27], -v[30:31]
	v_fmac_f64_e32 v[6:7], s[10:11], v[58:59]
	v_fmac_f64_e32 v[10:11], s[8:9], v[60:61]
	;; [unrolled: 1-line block ×5, first 2 shown]
	v_add_f64 v[56:57], v[0:1], v[18:19]
	v_add_f64 v[62:63], v[18:19], v[52:53]
	v_fmac_f64_e32 v[0:1], -0.5, v[62:63]
	v_add_f64 v[62:63], v[74:75], -v[18:19]
	v_add_f64 v[64:65], v[48:49], -v[52:53]
	v_add_f64 v[56:57], v[56:57], v[74:75]
	v_add_f64 v[62:63], v[62:63], v[64:65]
	v_fma_f64 v[64:65], s[10:11], v[60:61], v[0:1]
	v_fmac_f64_e32 v[0:1], s[12:13], v[60:61]
	v_add_f64 v[56:57], v[56:57], v[48:49]
	v_fmac_f64_e32 v[64:65], s[8:9], v[58:59]
	v_fmac_f64_e32 v[0:1], s[14:15], v[58:59]
	v_add_f64 v[56:57], v[56:57], v[52:53]
	v_add_f64 v[18:19], v[18:19], -v[52:53]
	v_add_f64 v[52:53], v[22:23], -v[26:27]
	;; [unrolled: 1-line block ×3, first 2 shown]
	v_add_f64 v[52:53], v[52:53], v[58:59]
	v_add_f64 v[58:59], v[26:27], v[30:31]
	v_fma_f64 v[58:59], -0.5, v[58:59], v[4:5]
	v_add_f64 v[48:49], v[74:75], -v[48:49]
	v_fma_f64 v[60:61], s[10:11], v[18:19], v[58:59]
	v_fmac_f64_e32 v[58:59], s[12:13], v[18:19]
	v_fmac_f64_e32 v[60:61], s[14:15], v[48:49]
	;; [unrolled: 1-line block ×5, first 2 shown]
	v_add_f64 v[52:53], v[4:5], v[22:23]
	v_fmac_f64_e32 v[64:65], s[6:7], v[62:63]
	v_fmac_f64_e32 v[0:1], s[6:7], v[62:63]
	v_add_f64 v[62:63], v[22:23], v[34:35]
	v_add_f64 v[52:53], v[52:53], v[26:27]
	v_fmac_f64_e32 v[4:5], -0.5, v[62:63]
	v_add_f64 v[22:23], v[26:27], -v[22:23]
	v_add_f64 v[26:27], v[52:53], v[30:31]
	v_add_f64 v[30:31], v[30:31], -v[34:35]
	v_add_f64 v[22:23], v[22:23], v[30:31]
	v_fma_f64 v[30:31], s[12:13], v[48:49], v[4:5]
	v_fmac_f64_e32 v[4:5], s[10:11], v[48:49]
	v_fmac_f64_e32 v[30:31], s[14:15], v[18:19]
	;; [unrolled: 1-line block ×5, first 2 shown]
	v_add_f64 v[18:19], v[40:41], -v[46:47]
	v_add_f64 v[22:23], v[54:55], -v[50:51]
	v_add_f64 v[18:19], v[18:19], v[22:23]
	v_add_f64 v[22:23], v[46:47], v[50:51]
	;; [unrolled: 1-line block ×3, first 2 shown]
	v_fma_f64 v[22:23], -0.5, v[22:23], v[8:9]
	v_add_f64 v[34:35], v[24:25], -v[36:37]
	v_fma_f64 v[48:49], s[12:13], v[34:35], v[22:23]
	v_add_f64 v[52:53], v[28:29], -v[32:33]
	v_fmac_f64_e32 v[22:23], s[10:11], v[34:35]
	v_fmac_f64_e32 v[48:49], s[8:9], v[52:53]
	;; [unrolled: 1-line block ×3, first 2 shown]
	v_add_f64 v[62:63], v[40:41], v[54:55]
	v_fmac_f64_e32 v[48:49], s[6:7], v[18:19]
	v_fmac_f64_e32 v[22:23], s[6:7], v[18:19]
	v_add_f64 v[18:19], v[8:9], v[40:41]
	v_fmac_f64_e32 v[8:9], -0.5, v[62:63]
	v_add_f64 v[62:63], v[46:47], -v[40:41]
	v_add_f64 v[66:67], v[50:51], -v[54:55]
	v_add_f64 v[62:63], v[62:63], v[66:67]
	v_fma_f64 v[66:67], s[10:11], v[52:53], v[8:9]
	v_fmac_f64_e32 v[8:9], s[12:13], v[52:53]
	v_add_f64 v[18:19], v[18:19], v[46:47]
	v_fmac_f64_e32 v[66:67], s[8:9], v[34:35]
	v_fmac_f64_e32 v[8:9], s[14:15], v[34:35]
	v_add_f64 v[18:19], v[18:19], v[50:51]
	v_add_f64 v[34:35], v[40:41], -v[54:55]
	v_add_f64 v[40:41], v[46:47], -v[50:51]
	v_add_f64 v[46:47], v[24:25], -v[28:29]
	v_add_f64 v[50:51], v[36:37], -v[32:33]
	v_add_f64 v[46:47], v[46:47], v[50:51]
	v_add_f64 v[50:51], v[28:29], v[32:33]
	v_fma_f64 v[50:51], -0.5, v[50:51], v[2:3]
	v_fma_f64 v[52:53], s[10:11], v[34:35], v[50:51]
	v_fmac_f64_e32 v[50:51], s[12:13], v[34:35]
	v_fmac_f64_e32 v[52:53], s[14:15], v[40:41]
	;; [unrolled: 1-line block ×5, first 2 shown]
	v_add_f64 v[46:47], v[2:3], v[24:25]
	v_add_f64 v[18:19], v[18:19], v[54:55]
	;; [unrolled: 1-line block ×4, first 2 shown]
	v_fmac_f64_e32 v[2:3], -0.5, v[54:55]
	v_add_f64 v[24:25], v[28:29], -v[24:25]
	v_add_f64 v[28:29], v[46:47], v[32:33]
	v_add_f64 v[32:33], v[32:33], -v[36:37]
	v_add_f64 v[24:25], v[24:25], v[32:33]
	v_fma_f64 v[32:33], s[12:13], v[40:41], v[2:3]
	v_fmac_f64_e32 v[2:3], s[10:11], v[40:41]
	v_fmac_f64_e32 v[32:33], s[14:15], v[34:35]
	;; [unrolled: 1-line block ×7, first 2 shown]
	v_add_f64 v[28:29], v[28:29], v[36:37]
	v_mul_f64 v[24:25], v[2:3], s[12:13]
	v_mul_f64 v[36:37], v[52:53], s[8:9]
	v_mul_f64 v[46:47], v[32:33], s[12:13]
	v_mul_f64 v[32:33], v[32:33], s[6:7]
	v_mul_f64 v[2:3], v[2:3], s[18:19]
	v_fmac_f64_e32 v[24:25], s[18:19], v[8:9]
	v_fmac_f64_e32 v[36:37], s[16:17], v[48:49]
	v_mul_f64 v[40:41], v[52:53], s[16:17]
	v_fmac_f64_e32 v[32:33], s[10:11], v[66:67]
	v_fmac_f64_e32 v[2:3], s[10:11], v[8:9]
	v_mul_f64 v[8:9], v[50:51], s[8:9]
	v_add_f64 v[34:35], v[0:1], v[24:25]
	v_add_f64 v[0:1], v[0:1], -v[24:25]
	v_add_f64 v[24:25], v[56:57], v[18:19]
	v_fmac_f64_e32 v[40:41], s[14:15], v[48:49]
	v_add_f64 v[48:49], v[10:11], v[36:37]
	v_fmac_f64_e32 v[8:9], s[2:3], v[22:23]
	v_mul_f64 v[50:51], v[50:51], s[2:3]
	v_add_f64 v[18:19], v[56:57], -v[18:19]
	v_add_f64 v[10:11], v[10:11], -v[36:37]
	v_add_f64 v[36:37], v[26:27], v[28:29]
	v_add_f64 v[56:57], v[30:31], v[32:33]
	v_add_f64 v[26:27], v[26:27], -v[28:29]
	v_add_f64 v[28:29], v[4:5], v[2:3]
	v_add_f64 v[30:31], v[30:31], -v[32:33]
	v_add_f64 v[32:33], v[4:5], -v[2:3]
	v_mul_u32_u24_e32 v2, 0x190, v17
	v_lshlrev_b32_sdwa v3, v43, v21 dst_sel:DWORD dst_unused:UNUSED_PAD src0_sel:DWORD src1_sel:BYTE_0
	v_fmac_f64_e32 v[46:47], s[6:7], v[66:67]
	v_fmac_f64_e32 v[50:51], s[14:15], v[22:23]
	v_add_f64 v[52:53], v[6:7], v[8:9]
	v_add_f64 v[54:55], v[60:61], v[40:41]
	v_add_f64 v[6:7], v[6:7], -v[8:9]
	v_add3_u32 v17, 0, v2, v3
	v_add_f64 v[22:23], v[64:65], v[46:47]
	v_add_f64 v[46:47], v[64:65], -v[46:47]
	v_add_f64 v[40:41], v[60:61], -v[40:41]
	v_add_f64 v[62:63], v[58:59], v[50:51]
	v_add_f64 v[64:65], v[58:59], -v[50:51]
	s_barrier
	ds_write2_b64 v17, v[24:25], v[48:49] offset1:5
	ds_write2_b64 v17, v[22:23], v[34:35] offset0:10 offset1:15
	ds_write2_b64 v17, v[52:53], v[18:19] offset0:20 offset1:25
	ds_write2_b64 v17, v[10:11], v[46:47] offset0:30 offset1:35
	ds_write2_b64 v17, v[0:1], v[6:7] offset0:40 offset1:45
	s_waitcnt lgkmcnt(0)
	s_barrier
	ds_read2_b64 v[0:3], v12 offset1:150
	ds_read2_b64 v[4:7], v13 offset0:44 offset1:194
	ds_read2_b64 v[8:11], v15 offset0:88 offset1:238
	;; [unrolled: 1-line block ×4, first 2 shown]
	s_waitcnt lgkmcnt(0)
	s_barrier
	ds_write2_b64 v17, v[36:37], v[54:55] offset1:5
	ds_write2_b64 v17, v[56:57], v[28:29] offset0:10 offset1:15
	ds_write2_b64 v17, v[62:63], v[26:27] offset0:20 offset1:25
	;; [unrolled: 1-line block ×4, first 2 shown]
	v_mov_b32_e32 v17, 41
	v_mul_lo_u16_sdwa v17, v42, v17 dst_sel:DWORD dst_unused:UNUSED_PAD src0_sel:BYTE_0 src1_sel:DWORD
	v_lshrrev_b16_e32 v21, 11, v17
	v_mul_lo_u16_e32 v17, 50, v21
	v_sub_u16_e32 v94, v42, v17
	v_mul_u32_u24_sdwa v16, v94, v16 dst_sel:DWORD dst_unused:UNUSED_PAD src0_sel:BYTE_0 src1_sel:DWORD
	v_lshlrev_b32_e32 v22, 4, v16
	s_waitcnt lgkmcnt(0)
	s_barrier
	global_load_dwordx4 v[16:19], v22, s[4:5] offset:736
	global_load_dwordx4 v[26:29], v22, s[4:5] offset:752
	;; [unrolled: 1-line block ×9, first 2 shown]
	ds_read2_b64 v[82:85], v13 offset0:44 offset1:194
	v_mul_u32_u24_e32 v21, 0xfa0, v21
	s_waitcnt vmcnt(8) lgkmcnt(0)
	v_mul_f64 v[34:35], v[82:83], v[18:19]
	v_fmac_f64_e32 v[34:35], v[4:5], v[16:17]
	v_mul_f64 v[4:5], v[4:5], v[18:19]
	v_fma_f64 v[24:25], v[82:83], v[16:17], -v[4:5]
	ds_read2_b64 v[16:19], v15 offset0:88 offset1:238
	s_waitcnt vmcnt(7)
	v_mul_f64 v[4:5], v[6:7], v[28:29]
	v_mul_f64 v[40:41], v[84:85], v[28:29]
	v_fma_f64 v[22:23], v[84:85], v[26:27], -v[4:5]
	s_waitcnt vmcnt(6)
	v_mul_f64 v[4:5], v[8:9], v[32:33]
	v_fmac_f64_e32 v[40:41], v[6:7], v[26:27]
	s_waitcnt lgkmcnt(0)
	v_fma_f64 v[28:29], v[16:17], v[30:31], -v[4:5]
	ds_read2_b64 v[4:7], v20 offset0:4 offset1:154
	v_mul_f64 v[46:47], v[16:17], v[32:33]
	v_fmac_f64_e32 v[46:47], v[8:9], v[30:31]
	s_waitcnt vmcnt(5)
	v_mul_f64 v[8:9], v[10:11], v[54:55]
	v_mul_f64 v[82:83], v[18:19], v[54:55]
	v_fma_f64 v[26:27], v[18:19], v[52:53], -v[8:9]
	s_waitcnt vmcnt(4)
	v_mul_f64 v[8:9], v[48:49], v[64:65]
	v_fmac_f64_e32 v[82:83], v[10:11], v[52:53]
	s_waitcnt lgkmcnt(0)
	v_fma_f64 v[32:33], v[4:5], v[62:63], -v[8:9]
	ds_read2_b64 v[8:11], v14 offset0:48 offset1:198
	ds_read2_b64 v[16:19], v12 offset1:150
	s_waitcnt vmcnt(3)
	v_mul_f64 v[14:15], v[50:51], v[68:69]
	v_mul_f64 v[54:55], v[4:5], v[64:65]
	;; [unrolled: 1-line block ×3, first 2 shown]
	v_fma_f64 v[30:31], v[6:7], v[66:67], -v[14:15]
	s_waitcnt vmcnt(2) lgkmcnt(1)
	v_mul_f64 v[56:57], v[8:9], v[72:73]
	v_mul_f64 v[6:7], v[58:59], v[72:73]
	v_fmac_f64_e32 v[54:55], v[48:49], v[62:63]
	v_fmac_f64_e32 v[56:57], v[58:59], v[70:71]
	v_fma_f64 v[48:49], v[8:9], v[70:71], -v[6:7]
	s_waitcnt vmcnt(1)
	v_mul_f64 v[8:9], v[60:61], v[76:77]
	s_waitcnt vmcnt(0) lgkmcnt(0)
	v_mul_f64 v[36:37], v[18:19], v[80:81]
	v_mul_f64 v[6:7], v[10:11], v[76:77]
	v_fma_f64 v[52:53], v[10:11], v[74:75], -v[8:9]
	v_fmac_f64_e32 v[36:37], v[2:3], v[78:79]
	v_mul_f64 v[2:3], v[2:3], v[80:81]
	v_add_f64 v[10:11], v[46:47], v[54:55]
	v_add_f64 v[14:15], v[34:35], v[56:57]
	v_fmac_f64_e32 v[4:5], v[50:51], v[66:67]
	v_fmac_f64_e32 v[6:7], v[60:61], v[74:75]
	v_fma_f64 v[2:3], v[18:19], v[78:79], -v[2:3]
	v_add_f64 v[8:9], v[0:1], v[34:35]
	v_fma_f64 v[10:11], -0.5, v[10:11], v[0:1]
	v_fmac_f64_e32 v[0:1], -0.5, v[14:15]
	v_add_f64 v[14:15], v[46:47], -v[34:35]
	v_add_f64 v[18:19], v[54:55], -v[56:57]
	v_add_f64 v[14:15], v[14:15], v[18:19]
	v_add_f64 v[18:19], v[82:83], v[4:5]
	;; [unrolled: 1-line block ×3, first 2 shown]
	v_fma_f64 v[58:59], -0.5, v[18:19], v[36:37]
	v_add_f64 v[18:19], v[36:37], v[40:41]
	v_fmac_f64_e32 v[36:37], -0.5, v[50:51]
	v_add_f64 v[50:51], v[82:83], -v[40:41]
	v_add_f64 v[60:61], v[4:5], -v[6:7]
	v_add_f64 v[50:51], v[50:51], v[60:61]
	v_add_f64 v[60:61], v[26:27], -v[22:23]
	v_add_f64 v[62:63], v[30:31], -v[52:53]
	v_add_f64 v[72:73], v[60:61], v[62:63]
	v_add_f64 v[62:63], v[22:23], v[52:53]
	v_fma_f64 v[62:63], -0.5, v[62:63], v[2:3]
	v_add_f64 v[86:87], v[82:83], -v[4:5]
	v_add_f64 v[80:81], v[26:27], -v[30:31]
	v_fma_f64 v[64:65], s[12:13], v[86:87], v[62:63]
	v_fmac_f64_e32 v[62:63], s[10:11], v[86:87]
	v_add_f64 v[88:89], v[40:41], -v[6:7]
	v_add_f64 v[74:75], v[28:29], -v[32:33]
	v_fma_f64 v[60:61], s[10:11], v[80:81], v[36:37]
	v_fmac_f64_e32 v[36:37], s[12:13], v[80:81]
	v_add_f64 v[84:85], v[22:23], -v[52:53]
	v_fmac_f64_e32 v[62:63], s[8:9], v[88:89]
	v_fma_f64 v[76:77], s[10:11], v[74:75], v[0:1]
	v_fmac_f64_e32 v[0:1], s[12:13], v[74:75]
	v_add_f64 v[78:79], v[24:25], -v[48:49]
	v_fmac_f64_e32 v[36:37], s[14:15], v[84:85]
	v_fmac_f64_e32 v[62:63], s[6:7], v[72:73]
	;; [unrolled: 1-line block ×4, first 2 shown]
	v_mul_f64 v[66:67], v[62:63], s[12:13]
	v_fmac_f64_e32 v[0:1], s[6:7], v[14:15]
	v_fmac_f64_e32 v[66:67], s[18:19], v[36:37]
	v_add_f64 v[90:91], v[0:1], v[66:67]
	v_add_f64 v[92:93], v[0:1], -v[66:67]
	v_add_f64 v[0:1], v[34:35], -v[46:47]
	;; [unrolled: 1-line block ×3, first 2 shown]
	v_add_f64 v[0:1], v[0:1], v[66:67]
	v_add_f64 v[18:19], v[18:19], v[82:83]
	;; [unrolled: 1-line block ×3, first 2 shown]
	v_add_f64 v[40:41], v[40:41], -v[82:83]
	v_add_f64 v[18:19], v[18:19], v[4:5]
	v_add_f64 v[4:5], v[6:7], -v[4:5]
	v_fma_f64 v[66:67], -0.5, v[66:67], v[2:3]
	v_add_f64 v[18:19], v[18:19], v[6:7]
	v_add_f64 v[4:5], v[40:41], v[4:5]
	v_add_f64 v[6:7], v[22:23], -v[26:27]
	v_add_f64 v[40:41], v[52:53], -v[30:31]
	v_fma_f64 v[70:71], s[10:11], v[88:89], v[66:67]
	v_fmac_f64_e32 v[66:67], s[12:13], v[88:89]
	v_add_f64 v[6:7], v[6:7], v[40:41]
	v_lshlrev_b32_sdwa v40, v43, v94 dst_sel:DWORD dst_unused:UNUSED_PAD src0_sel:DWORD src1_sel:BYTE_0
	v_fma_f64 v[68:69], s[12:13], v[84:85], v[58:59]
	v_fmac_f64_e32 v[58:59], s[10:11], v[84:85]
	v_fmac_f64_e32 v[66:67], s[8:9], v[86:87]
	v_add3_u32 v43, 0, v21, v40
	v_add_f64 v[8:9], v[8:9], v[46:47]
	v_fma_f64 v[40:41], s[12:13], v[78:79], v[10:11]
	v_fmac_f64_e32 v[68:69], s[8:9], v[80:81]
	v_fmac_f64_e32 v[70:71], s[14:15], v[86:87]
	;; [unrolled: 1-line block ×6, first 2 shown]
	v_add_f64 v[8:9], v[8:9], v[54:55]
	v_fmac_f64_e32 v[68:69], s[6:7], v[4:5]
	v_fmac_f64_e32 v[70:71], s[6:7], v[6:7]
	;; [unrolled: 1-line block ×7, first 2 shown]
	v_mul_f64 v[4:5], v[66:67], s[8:9]
	v_add_f64 v[8:9], v[8:9], v[56:57]
	v_fmac_f64_e32 v[40:41], s[8:9], v[74:75]
	v_mul_f64 v[82:83], v[70:71], s[8:9]
	v_fmac_f64_e32 v[76:77], s[6:7], v[14:15]
	v_fmac_f64_e32 v[60:61], s[6:7], v[50:51]
	v_mul_f64 v[14:15], v[64:65], s[12:13]
	v_fmac_f64_e32 v[10:11], s[6:7], v[0:1]
	v_fmac_f64_e32 v[4:5], s[2:3], v[58:59]
	;; [unrolled: 1-line block ×5, first 2 shown]
	v_add_f64 v[0:1], v[8:9], -v[18:19]
	v_add_f64 v[6:7], v[10:11], v[4:5]
	s_barrier
	ds_write2_b64 v43, v[6:7], v[0:1] offset0:200 offset1:250
	v_add_f64 v[0:1], v[40:41], -v[82:83]
	v_add_f64 v[6:7], v[76:77], -v[14:15]
	v_add_u32_e32 v72, 0x800, v43
	v_add_f64 v[94:95], v[8:9], v[18:19]
	v_add_f64 v[96:97], v[40:41], v[82:83]
	v_add_f64 v[50:51], v[76:77], v[14:15]
	ds_write2_b64 v72, v[0:1], v[6:7] offset0:44 offset1:94
	v_add_f64 v[0:1], v[10:11], -v[4:5]
	v_add_u32_e32 v18, 0x1400, v12
	ds_write2_b64 v43, v[94:95], v[96:97] offset1:50
	ds_write2_b64 v43, v[50:51], v[90:91] offset0:100 offset1:150
	ds_write2_b64 v72, v[92:93], v[0:1] offset0:144 offset1:194
	s_waitcnt lgkmcnt(0)
	s_barrier
	ds_read_b64 v[50:51], v12 offset:10400
	ds_read2_b64 v[4:7], v12 offset1:150
	ds_read2_b64 v[12:15], v13 offset0:44 offset1:244
	ds_read2_b64 v[8:11], v20 offset0:104 offset1:254
	;; [unrolled: 1-line block ×3, first 2 shown]
	v_cmp_gt_u32_e64 s[2:3], 50, v42
	v_add_u32_e32 v73, v38, v39
                                        ; implicit-def: $vgpr38_vgpr39
                                        ; implicit-def: $vgpr40_vgpr41
	s_and_saveexec_b64 s[18:19], s[2:3]
	s_cbranch_execz .LBB0_13
; %bb.12:
	ds_read_b64 v[0:1], v73 offset:3600
	ds_read_b64 v[40:41], v73 offset:7600
	;; [unrolled: 1-line block ×3, first 2 shown]
.LBB0_13:
	s_or_b64 exec, exec, s[18:19]
	v_add_f64 v[76:77], v[28:29], v[32:33]
	v_fma_f64 v[76:77], -0.5, v[76:77], v[16:17]
	v_add_f64 v[34:35], v[34:35], -v[56:57]
	v_fma_f64 v[56:57], s[10:11], v[34:35], v[76:77]
	v_add_f64 v[46:47], v[46:47], -v[54:55]
	v_add_f64 v[54:55], v[24:25], -v[28:29]
	;; [unrolled: 1-line block ×3, first 2 shown]
	v_fmac_f64_e32 v[76:77], s[12:13], v[34:35]
	v_fmac_f64_e32 v[56:57], s[14:15], v[46:47]
	v_add_f64 v[54:55], v[54:55], v[78:79]
	v_fmac_f64_e32 v[76:77], s[8:9], v[46:47]
	v_fmac_f64_e32 v[56:57], s[6:7], v[54:55]
	;; [unrolled: 1-line block ×3, first 2 shown]
	v_add_f64 v[54:55], v[24:25], v[48:49]
	v_add_f64 v[74:75], v[16:17], v[24:25]
	v_fmac_f64_e32 v[16:17], -0.5, v[54:55]
	v_add_f64 v[74:75], v[74:75], v[28:29]
	v_fma_f64 v[54:55], s[12:13], v[46:47], v[16:17]
	v_add_f64 v[24:25], v[28:29], -v[24:25]
	v_add_f64 v[28:29], v[32:33], -v[48:49]
	v_fmac_f64_e32 v[16:17], s[10:11], v[46:47]
	v_add_f64 v[2:3], v[2:3], v[22:23]
	v_fmac_f64_e32 v[54:55], s[14:15], v[34:35]
	v_add_f64 v[24:25], v[24:25], v[28:29]
	;; [unrolled: 2-line block ×3, first 2 shown]
	v_add_f64 v[74:75], v[74:75], v[32:33]
	v_fmac_f64_e32 v[54:55], s[6:7], v[24:25]
	v_fmac_f64_e32 v[16:17], s[6:7], v[24:25]
	v_add_f64 v[2:3], v[2:3], v[30:31]
	v_mul_f64 v[24:25], v[70:71], s[16:17]
	v_mul_f64 v[32:33], v[62:63], s[6:7]
	v_add_f64 v[74:75], v[74:75], v[48:49]
	v_add_f64 v[2:3], v[2:3], v[52:53]
	v_fmac_f64_e32 v[24:25], s[14:15], v[68:69]
	v_mul_f64 v[28:29], v[64:65], s[6:7]
	v_fma_f64 v[32:33], v[36:37], s[10:11], -v[32:33]
	v_mul_f64 v[36:37], v[66:67], s[16:17]
	v_add_f64 v[22:23], v[74:75], v[2:3]
	v_add_f64 v[26:27], v[56:57], v[24:25]
	v_fmac_f64_e32 v[28:29], s[10:11], v[60:61]
	v_add_f64 v[34:35], v[16:17], v[32:33]
	v_fma_f64 v[36:37], v[58:59], s[14:15], -v[36:37]
	v_add_f64 v[16:17], v[16:17], -v[32:33]
	v_add_f64 v[30:31], v[54:55], v[28:29]
	v_add_f64 v[46:47], v[76:77], v[36:37]
	v_add_f64 v[48:49], v[74:75], -v[2:3]
	v_add_f64 v[24:25], v[56:57], -v[24:25]
	;; [unrolled: 1-line block ×4, first 2 shown]
	s_waitcnt lgkmcnt(0)
	s_barrier
	ds_write2_b64 v43, v[22:23], v[26:27] offset1:50
	ds_write2_b64 v43, v[30:31], v[34:35] offset0:100 offset1:150
	ds_write2_b64 v43, v[46:47], v[48:49] offset0:200 offset1:250
	;; [unrolled: 1-line block ×4, first 2 shown]
	v_add_u32_e32 v16, 0x800, v73
	s_waitcnt lgkmcnt(0)
	s_barrier
	ds_read2_b64 v[30:33], v16 offset0:44 offset1:244
	v_add_u32_e32 v16, 0x1c00, v73
	ds_read2_b64 v[26:29], v16 offset0:104 offset1:254
	v_add_u32_e32 v16, 0x1400, v73
	ds_read2_b64 v[22:25], v73 offset1:150
	ds_read2_b64 v[34:37], v16 offset0:10 offset1:160
	ds_read_b64 v[52:53], v73 offset:10400
                                        ; implicit-def: $vgpr16_vgpr17
                                        ; implicit-def: $vgpr46_vgpr47
	s_and_saveexec_b64 s[6:7], s[2:3]
	s_cbranch_execz .LBB0_15
; %bb.14:
	ds_read_b64 v[2:3], v73 offset:3600
	ds_read_b64 v[46:47], v73 offset:7600
	;; [unrolled: 1-line block ×3, first 2 shown]
.LBB0_15:
	s_or_b64 exec, exec, s[6:7]
	s_and_saveexec_b64 s[6:7], s[0:1]
	s_cbranch_execz .LBB0_18
; %bb.16:
	v_add_u32_e32 v89, 0x12c, v42
	v_lshlrev_b32_e32 v48, 1, v89
	v_mov_b32_e32 v49, 0
	v_lshl_add_u64 v[54:55], v[48:49], 4, s[4:5]
	v_add_u32_e32 v88, 0x96, v42
	s_mov_b64 s[0:1], 0x1ef0
	v_add_co_u32_e32 v64, vcc, 0x1000, v54
	v_lshl_add_u64 v[62:63], v[54:55], 0, s[0:1]
	s_nop 0
	v_addc_co_u32_e32 v65, vcc, 0, v55, vcc
	v_lshlrev_b32_e32 v48, 1, v88
	s_movk_i32 s10, 0x1000
	global_load_dwordx4 v[54:57], v[64:65], off offset:3824
	global_load_dwordx4 v[58:61], v[62:63], off offset:16
	v_lshl_add_u64 v[62:63], v[48:49], 4, s[4:5]
	v_add_co_u32_e32 v72, vcc, s10, v62
	v_lshl_add_u64 v[70:71], v[62:63], 0, s[0:1]
	s_nop 0
	v_addc_co_u32_e32 v73, vcc, 0, v63, vcc
	v_lshlrev_b32_e32 v48, 1, v42
	global_load_dwordx4 v[62:65], v[72:73], off offset:3824
	global_load_dwordx4 v[66:69], v[70:71], off offset:16
	v_lshl_add_u64 v[70:71], v[48:49], 4, s[4:5]
	v_add_co_u32_e32 v80, vcc, s10, v70
	v_lshl_add_u64 v[78:79], v[70:71], 0, s[0:1]
	s_nop 0
	v_addc_co_u32_e32 v81, vcc, 0, v71, vcc
	global_load_dwordx4 v[70:73], v[80:81], off offset:3824
	global_load_dwordx4 v[74:77], v[78:79], off offset:16
	s_mov_b32 s6, 0xe8584caa
	s_mov_b32 s7, 0xbfebb67a
	;; [unrolled: 1-line block ×4, first 2 shown]
	v_mov_b32_e32 v43, v49
	s_movk_i32 s12, 0x2000
	s_movk_i32 s11, 0x3e8
	s_waitcnt vmcnt(5)
	v_mul_f64 v[78:79], v[20:21], v[56:57]
	s_waitcnt vmcnt(4)
	v_mul_f64 v[80:81], v[50:51], v[60:61]
	s_waitcnt lgkmcnt(1)
	v_mul_f64 v[56:57], v[36:37], v[56:57]
	s_waitcnt lgkmcnt(0)
	v_mul_f64 v[60:61], v[52:53], v[60:61]
	v_fma_f64 v[36:37], v[36:37], v[54:55], -v[78:79]
	v_fma_f64 v[52:53], v[52:53], v[58:59], -v[80:81]
	v_fmac_f64_e32 v[56:57], v[20:21], v[54:55]
	v_fmac_f64_e32 v[60:61], v[50:51], v[58:59]
	s_waitcnt vmcnt(3)
	v_mul_f64 v[82:83], v[18:19], v[64:65]
	s_waitcnt vmcnt(2)
	v_mul_f64 v[84:85], v[10:11], v[68:69]
	v_mul_f64 v[64:65], v[34:35], v[64:65]
	;; [unrolled: 1-line block ×3, first 2 shown]
	v_fma_f64 v[20:21], v[34:35], v[62:63], -v[82:83]
	v_fmac_f64_e32 v[64:65], v[18:19], v[62:63]
	v_fmac_f64_e32 v[68:69], v[10:11], v[66:67]
	s_waitcnt vmcnt(1)
	v_mul_f64 v[10:11], v[14:15], v[72:73]
	s_waitcnt vmcnt(0)
	v_mul_f64 v[18:19], v[8:9], v[76:77]
	v_fma_f64 v[28:29], v[28:29], v[66:67], -v[84:85]
	v_mul_f64 v[58:59], v[32:33], v[72:73]
	v_add_f64 v[34:35], v[36:37], v[52:53]
	v_add_f64 v[78:79], v[24:25], v[20:21]
	;; [unrolled: 1-line block ×3, first 2 shown]
	v_fma_f64 v[84:85], v[32:33], v[70:71], -v[10:11]
	v_fma_f64 v[86:87], v[26:27], v[74:75], -v[18:19]
	v_add_f64 v[66:67], v[20:21], v[28:29]
	v_add_f64 v[72:73], v[64:65], -v[68:69]
	v_add_f64 v[80:81], v[20:21], -v[28:29]
	v_add_f64 v[64:65], v[6:7], v[64:65]
	v_fmac_f64_e32 v[58:59], v[14:15], v[70:71]
	v_fma_f64 v[14:15], -0.5, v[34:35], v[30:31]
	v_add_f64 v[34:35], v[78:79], v[28:29]
	v_fma_f64 v[28:29], -0.5, v[82:83], v[6:7]
	v_add_f64 v[6:7], v[84:85], v[86:87]
	v_fma_f64 v[10:11], -0.5, v[6:7], v[22:23]
	v_mul_f64 v[6:7], v[26:27], v[76:77]
	v_fmac_f64_e32 v[6:7], v[8:9], v[74:75]
	v_add_f64 v[8:9], v[58:59], -v[6:7]
	v_add_f64 v[50:51], v[56:57], -v[60:61]
	v_add_f64 v[54:55], v[30:31], v[36:37]
	v_add_f64 v[62:63], v[56:57], v[60:61]
	;; [unrolled: 1-line block ×3, first 2 shown]
	v_fma_f64 v[30:31], -0.5, v[66:67], v[24:25]
	v_fma_f64 v[24:25], s[6:7], v[8:9], v[10:11]
	v_fmac_f64_e32 v[10:11], s[8:9], v[8:9]
	v_add_f64 v[8:9], v[22:23], v[84:85]
	v_add_f64 v[18:19], v[56:57], v[60:61]
	;; [unrolled: 1-line block ×4, first 2 shown]
	v_fma_f64 v[8:9], -0.5, v[8:9], v[4:5]
	v_add_f64 v[4:5], v[4:5], v[58:59]
	v_add_f64 v[58:59], v[4:5], v[6:7]
	v_lshl_add_u64 v[6:7], v[42:43], 4, v[44:45]
	v_add_f64 v[26:27], v[84:85], -v[86:87]
	v_add_co_u32_e32 v4, vcc, s10, v6
	v_fma_f64 v[22:23], s[8:9], v[26:27], v[8:9]
	v_fmac_f64_e32 v[8:9], s[6:7], v[26:27]
	v_addc_co_u32_e32 v5, vcc, 0, v7, vcc
	s_movk_i32 s10, 0x3000
	global_store_dwordx4 v[4:5], v[8:11], off offset:3904
	v_add_f64 v[32:33], v[64:65], v[68:69]
	v_add_f64 v[20:21], v[54:55], v[52:53]
	v_add_co_u32_e32 v8, vcc, s10, v6
	s_mov_b32 s10, 0x10624dd3
	s_nop 0
	v_addc_co_u32_e32 v9, vcc, 0, v7, vcc
	global_store_dwordx4 v[8:9], v[22:25], off offset:3712
	v_mul_hi_u32 v8, v88, s10
	v_lshrrev_b32_e32 v8, 5, v8
	v_mul_u32_u24_e32 v48, 0x3e8, v8
	v_lshl_add_u64 v[8:9], v[48:49], 4, v[6:7]
	v_add_co_u32_e32 v10, vcc, s12, v8
	global_store_dwordx4 v[8:9], v[32:35], off offset:2400
	s_nop 0
	v_addc_co_u32_e32 v11, vcc, 0, v9, vcc
	v_add_co_u32_e32 v8, vcc, 0x4000, v8
	v_fma_f64 v[56:57], s[6:7], v[72:73], v[30:31]
	v_fma_f64 v[54:55], s[8:9], v[80:81], v[28:29]
	v_addc_co_u32_e32 v9, vcc, 0, v9, vcc
	global_store_dwordx4 v[8:9], v[54:57], off offset:2016
	v_mul_hi_u32 v8, v89, s10
	v_lshrrev_b32_e32 v8, 5, v8
	v_mad_u32_u24 v48, v8, s11, v89
	v_fmac_f64_e32 v[30:31], s[8:9], v[72:73]
	v_fmac_f64_e32 v[28:29], s[6:7], v[80:81]
	v_lshl_add_u64 v[8:9], v[48:49], 4, v[44:45]
	global_store_dwordx4 v[10:11], v[28:31], off offset:2208
	v_add_co_u32_e32 v10, vcc, 0x1000, v8
	v_add_f64 v[36:37], v[36:37], -v[52:53]
	s_nop 0
	v_addc_co_u32_e32 v11, vcc, 0, v9, vcc
	v_fma_f64 v[12:13], -0.5, v[62:63], v[12:13]
	global_store_dwordx4 v[6:7], v[58:61], off
	global_store_dwordx4 v[8:9], v[18:21], off
	v_add_co_u32_e32 v8, vcc, 0x3000, v8
	v_fma_f64 v[52:53], s[6:7], v[50:51], v[14:15]
	v_fmac_f64_e32 v[14:15], s[8:9], v[50:51]
	v_fma_f64 v[50:51], s[8:9], v[36:37], v[12:13]
	v_fmac_f64_e32 v[12:13], s[6:7], v[36:37]
	v_addc_co_u32_e32 v9, vcc, 0, v9, vcc
	global_store_dwordx4 v[10:11], v[12:15], off offset:3904
	global_store_dwordx4 v[8:9], v[50:53], off offset:3712
	s_and_b64 exec, exec, s[2:3]
	s_cbranch_execz .LBB0_18
; %bb.17:
	v_not_b32_e32 v8, 49
	v_mov_b32_e32 v9, 0x1c2
	v_cndmask_b32_e64 v8, v8, v9, s[2:3]
	v_add_lshl_u32 v48, v42, v8, 1
	v_lshl_add_u64 v[12:13], v[48:49], 4, s[4:5]
	v_add_co_u32_e32 v8, vcc, 0x1000, v12
	s_nop 1
	v_addc_co_u32_e32 v9, vcc, 0, v13, vcc
	v_lshl_add_u64 v[12:13], v[12:13], 0, s[0:1]
	global_load_dwordx4 v[8:11], v[8:9], off offset:3824
	v_add_co_u32_e32 v18, vcc, 0x3000, v6
	global_load_dwordx4 v[12:15], v[12:13], off offset:16
	s_nop 0
	v_addc_co_u32_e32 v19, vcc, 0, v7, vcc
	v_add_co_u32_e32 v20, vcc, 0x5000, v6
	s_waitcnt vmcnt(0)
	v_mul_f64 v[22:23], v[16:17], v[14:15]
	v_addc_co_u32_e32 v21, vcc, 0, v7, vcc
	v_mul_f64 v[6:7], v[46:47], v[10:11]
	v_mul_f64 v[10:11], v[40:41], v[10:11]
	v_mul_f64 v[14:15], v[38:39], v[14:15]
	v_fmac_f64_e32 v[6:7], v[40:41], v[8:9]
	v_fma_f64 v[8:9], v[46:47], v[8:9], -v[10:11]
	v_fmac_f64_e32 v[22:23], v[38:39], v[12:13]
	v_fma_f64 v[10:11], v[16:17], v[12:13], -v[14:15]
	v_add_f64 v[12:13], v[0:1], v[6:7]
	v_add_f64 v[14:15], v[6:7], v[22:23]
	;; [unrolled: 1-line block ×4, first 2 shown]
	v_add_f64 v[16:17], v[8:9], -v[10:11]
	v_add_f64 v[28:29], v[6:7], -v[22:23]
	v_add_f64 v[6:7], v[12:13], v[22:23]
	v_fmac_f64_e32 v[0:1], -0.5, v[14:15]
	v_add_f64 v[8:9], v[24:25], v[10:11]
	v_fmac_f64_e32 v[2:3], -0.5, v[26:27]
	v_fma_f64 v[10:11], s[6:7], v[16:17], v[0:1]
	v_fmac_f64_e32 v[0:1], s[8:9], v[16:17]
	v_fma_f64 v[12:13], s[8:9], v[28:29], v[2:3]
	v_fmac_f64_e32 v[2:3], s[6:7], v[28:29]
	global_store_dwordx4 v[4:5], v[6:9], off offset:3104
	global_store_dwordx4 v[18:19], v[10:13], off offset:2912
	;; [unrolled: 1-line block ×3, first 2 shown]
.LBB0_18:
	s_endpgm
	.section	.rodata,"a",@progbits
	.p2align	6, 0x0
	.amdhsa_kernel fft_rtc_back_len1500_factors_5_10_10_3_wgs_150_tpt_150_halfLds_dp_ip_CI_unitstride_sbrr_dirReg
		.amdhsa_group_segment_fixed_size 0
		.amdhsa_private_segment_fixed_size 0
		.amdhsa_kernarg_size 88
		.amdhsa_user_sgpr_count 2
		.amdhsa_user_sgpr_dispatch_ptr 0
		.amdhsa_user_sgpr_queue_ptr 0
		.amdhsa_user_sgpr_kernarg_segment_ptr 1
		.amdhsa_user_sgpr_dispatch_id 0
		.amdhsa_user_sgpr_kernarg_preload_length 0
		.amdhsa_user_sgpr_kernarg_preload_offset 0
		.amdhsa_user_sgpr_private_segment_size 0
		.amdhsa_uses_dynamic_stack 0
		.amdhsa_enable_private_segment 0
		.amdhsa_system_sgpr_workgroup_id_x 1
		.amdhsa_system_sgpr_workgroup_id_y 0
		.amdhsa_system_sgpr_workgroup_id_z 0
		.amdhsa_system_sgpr_workgroup_info 0
		.amdhsa_system_vgpr_workitem_id 0
		.amdhsa_next_free_vgpr 98
		.amdhsa_next_free_sgpr 22
		.amdhsa_accum_offset 100
		.amdhsa_reserve_vcc 1
		.amdhsa_float_round_mode_32 0
		.amdhsa_float_round_mode_16_64 0
		.amdhsa_float_denorm_mode_32 3
		.amdhsa_float_denorm_mode_16_64 3
		.amdhsa_dx10_clamp 1
		.amdhsa_ieee_mode 1
		.amdhsa_fp16_overflow 0
		.amdhsa_tg_split 0
		.amdhsa_exception_fp_ieee_invalid_op 0
		.amdhsa_exception_fp_denorm_src 0
		.amdhsa_exception_fp_ieee_div_zero 0
		.amdhsa_exception_fp_ieee_overflow 0
		.amdhsa_exception_fp_ieee_underflow 0
		.amdhsa_exception_fp_ieee_inexact 0
		.amdhsa_exception_int_div_zero 0
	.end_amdhsa_kernel
	.text
.Lfunc_end0:
	.size	fft_rtc_back_len1500_factors_5_10_10_3_wgs_150_tpt_150_halfLds_dp_ip_CI_unitstride_sbrr_dirReg, .Lfunc_end0-fft_rtc_back_len1500_factors_5_10_10_3_wgs_150_tpt_150_halfLds_dp_ip_CI_unitstride_sbrr_dirReg
                                        ; -- End function
	.section	.AMDGPU.csdata,"",@progbits
; Kernel info:
; codeLenInByte = 7080
; NumSgprs: 28
; NumVgprs: 98
; NumAgprs: 0
; TotalNumVgprs: 98
; ScratchSize: 0
; MemoryBound: 1
; FloatMode: 240
; IeeeMode: 1
; LDSByteSize: 0 bytes/workgroup (compile time only)
; SGPRBlocks: 3
; VGPRBlocks: 12
; NumSGPRsForWavesPerEU: 28
; NumVGPRsForWavesPerEU: 98
; AccumOffset: 100
; Occupancy: 4
; WaveLimiterHint : 1
; COMPUTE_PGM_RSRC2:SCRATCH_EN: 0
; COMPUTE_PGM_RSRC2:USER_SGPR: 2
; COMPUTE_PGM_RSRC2:TRAP_HANDLER: 0
; COMPUTE_PGM_RSRC2:TGID_X_EN: 1
; COMPUTE_PGM_RSRC2:TGID_Y_EN: 0
; COMPUTE_PGM_RSRC2:TGID_Z_EN: 0
; COMPUTE_PGM_RSRC2:TIDIG_COMP_CNT: 0
; COMPUTE_PGM_RSRC3_GFX90A:ACCUM_OFFSET: 24
; COMPUTE_PGM_RSRC3_GFX90A:TG_SPLIT: 0
	.text
	.p2alignl 6, 3212836864
	.fill 256, 4, 3212836864
	.type	__hip_cuid_c75f70e7dac7a319,@object ; @__hip_cuid_c75f70e7dac7a319
	.section	.bss,"aw",@nobits
	.globl	__hip_cuid_c75f70e7dac7a319
__hip_cuid_c75f70e7dac7a319:
	.byte	0                               ; 0x0
	.size	__hip_cuid_c75f70e7dac7a319, 1

	.ident	"AMD clang version 19.0.0git (https://github.com/RadeonOpenCompute/llvm-project roc-6.4.0 25133 c7fe45cf4b819c5991fe208aaa96edf142730f1d)"
	.section	".note.GNU-stack","",@progbits
	.addrsig
	.addrsig_sym __hip_cuid_c75f70e7dac7a319
	.amdgpu_metadata
---
amdhsa.kernels:
  - .agpr_count:     0
    .args:
      - .actual_access:  read_only
        .address_space:  global
        .offset:         0
        .size:           8
        .value_kind:     global_buffer
      - .offset:         8
        .size:           8
        .value_kind:     by_value
      - .actual_access:  read_only
        .address_space:  global
        .offset:         16
        .size:           8
        .value_kind:     global_buffer
      - .actual_access:  read_only
        .address_space:  global
        .offset:         24
        .size:           8
        .value_kind:     global_buffer
      - .offset:         32
        .size:           8
        .value_kind:     by_value
      - .actual_access:  read_only
        .address_space:  global
        .offset:         40
        .size:           8
        .value_kind:     global_buffer
      - .actual_access:  read_only
        .address_space:  global
        .offset:         48
        .size:           8
        .value_kind:     global_buffer
      - .offset:         56
        .size:           4
        .value_kind:     by_value
      - .actual_access:  read_only
        .address_space:  global
        .offset:         64
        .size:           8
        .value_kind:     global_buffer
      - .actual_access:  read_only
        .address_space:  global
        .offset:         72
        .size:           8
        .value_kind:     global_buffer
      - .address_space:  global
        .offset:         80
        .size:           8
        .value_kind:     global_buffer
    .group_segment_fixed_size: 0
    .kernarg_segment_align: 8
    .kernarg_segment_size: 88
    .language:       OpenCL C
    .language_version:
      - 2
      - 0
    .max_flat_workgroup_size: 150
    .name:           fft_rtc_back_len1500_factors_5_10_10_3_wgs_150_tpt_150_halfLds_dp_ip_CI_unitstride_sbrr_dirReg
    .private_segment_fixed_size: 0
    .sgpr_count:     28
    .sgpr_spill_count: 0
    .symbol:         fft_rtc_back_len1500_factors_5_10_10_3_wgs_150_tpt_150_halfLds_dp_ip_CI_unitstride_sbrr_dirReg.kd
    .uniform_work_group_size: 1
    .uses_dynamic_stack: false
    .vgpr_count:     98
    .vgpr_spill_count: 0
    .wavefront_size: 64
amdhsa.target:   amdgcn-amd-amdhsa--gfx950
amdhsa.version:
  - 1
  - 2
...

	.end_amdgpu_metadata
